;; amdgpu-corpus repo=ROCm/rocFFT kind=compiled arch=gfx1201 opt=O3
	.text
	.amdgcn_target "amdgcn-amd-amdhsa--gfx1201"
	.amdhsa_code_object_version 6
	.protected	fft_rtc_back_len704_factors_2_2_2_2_11_2_2_wgs_176_tpt_88_halfLds_half_ip_CI_unitstride_sbrr_dirReg ; -- Begin function fft_rtc_back_len704_factors_2_2_2_2_11_2_2_wgs_176_tpt_88_halfLds_half_ip_CI_unitstride_sbrr_dirReg
	.globl	fft_rtc_back_len704_factors_2_2_2_2_11_2_2_wgs_176_tpt_88_halfLds_half_ip_CI_unitstride_sbrr_dirReg
	.p2align	8
	.type	fft_rtc_back_len704_factors_2_2_2_2_11_2_2_wgs_176_tpt_88_halfLds_half_ip_CI_unitstride_sbrr_dirReg,@function
fft_rtc_back_len704_factors_2_2_2_2_11_2_2_wgs_176_tpt_88_halfLds_half_ip_CI_unitstride_sbrr_dirReg: ; @fft_rtc_back_len704_factors_2_2_2_2_11_2_2_wgs_176_tpt_88_halfLds_half_ip_CI_unitstride_sbrr_dirReg
; %bb.0:
	s_clause 0x2
	s_load_b128 s[4:7], s[0:1], 0x0
	s_load_b64 s[8:9], s[0:1], 0x50
	s_load_b64 s[10:11], s[0:1], 0x18
	v_mul_u32_u24_e32 v1, 0x2e9, v0
	v_mov_b32_e32 v3, 0
	s_delay_alu instid0(VALU_DEP_2) | instskip(SKIP_2) | instid1(VALU_DEP_4)
	v_lshrrev_b32_e32 v9, 16, v1
	v_mov_b32_e32 v1, 0
	v_mov_b32_e32 v2, 0
	;; [unrolled: 1-line block ×3, first 2 shown]
	s_delay_alu instid0(VALU_DEP_4) | instskip(SKIP_2) | instid1(VALU_DEP_1)
	v_lshl_add_u32 v5, ttmp9, 1, v9
	s_wait_kmcnt 0x0
	v_cmp_lt_u64_e64 s2, s[6:7], 2
	s_and_b32 vcc_lo, exec_lo, s2
	s_cbranch_vccnz .LBB0_8
; %bb.1:
	s_load_b64 s[2:3], s[0:1], 0x10
	v_mov_b32_e32 v1, 0
	v_mov_b32_e32 v2, 0
	s_add_nc_u64 s[12:13], s[10:11], 8
	s_mov_b64 s[14:15], 1
	s_wait_kmcnt 0x0
	s_add_nc_u64 s[16:17], s[2:3], 8
	s_mov_b32 s3, 0
.LBB0_2:                                ; =>This Inner Loop Header: Depth=1
	s_load_b64 s[18:19], s[16:17], 0x0
                                        ; implicit-def: $vgpr7_vgpr8
	s_mov_b32 s2, exec_lo
	s_wait_kmcnt 0x0
	v_or_b32_e32 v4, s19, v6
	s_delay_alu instid0(VALU_DEP_1)
	v_cmpx_ne_u64_e32 0, v[3:4]
	s_wait_alu 0xfffe
	s_xor_b32 s20, exec_lo, s2
	s_cbranch_execz .LBB0_4
; %bb.3:                                ;   in Loop: Header=BB0_2 Depth=1
	s_cvt_f32_u32 s2, s18
	s_cvt_f32_u32 s21, s19
	s_sub_nc_u64 s[24:25], 0, s[18:19]
	s_wait_alu 0xfffe
	s_delay_alu instid0(SALU_CYCLE_1) | instskip(SKIP_1) | instid1(SALU_CYCLE_2)
	s_fmamk_f32 s2, s21, 0x4f800000, s2
	s_wait_alu 0xfffe
	v_s_rcp_f32 s2, s2
	s_delay_alu instid0(TRANS32_DEP_1) | instskip(SKIP_1) | instid1(SALU_CYCLE_2)
	s_mul_f32 s2, s2, 0x5f7ffffc
	s_wait_alu 0xfffe
	s_mul_f32 s21, s2, 0x2f800000
	s_wait_alu 0xfffe
	s_delay_alu instid0(SALU_CYCLE_2) | instskip(SKIP_1) | instid1(SALU_CYCLE_2)
	s_trunc_f32 s21, s21
	s_wait_alu 0xfffe
	s_fmamk_f32 s2, s21, 0xcf800000, s2
	s_cvt_u32_f32 s23, s21
	s_wait_alu 0xfffe
	s_delay_alu instid0(SALU_CYCLE_1) | instskip(SKIP_1) | instid1(SALU_CYCLE_2)
	s_cvt_u32_f32 s22, s2
	s_wait_alu 0xfffe
	s_mul_u64 s[26:27], s[24:25], s[22:23]
	s_wait_alu 0xfffe
	s_mul_hi_u32 s29, s22, s27
	s_mul_i32 s28, s22, s27
	s_mul_hi_u32 s2, s22, s26
	s_mul_i32 s30, s23, s26
	s_wait_alu 0xfffe
	s_add_nc_u64 s[28:29], s[2:3], s[28:29]
	s_mul_hi_u32 s21, s23, s26
	s_mul_hi_u32 s31, s23, s27
	s_add_co_u32 s2, s28, s30
	s_wait_alu 0xfffe
	s_add_co_ci_u32 s2, s29, s21
	s_mul_i32 s26, s23, s27
	s_add_co_ci_u32 s27, s31, 0
	s_wait_alu 0xfffe
	s_add_nc_u64 s[26:27], s[2:3], s[26:27]
	s_wait_alu 0xfffe
	v_add_co_u32 v4, s2, s22, s26
	s_delay_alu instid0(VALU_DEP_1) | instskip(SKIP_1) | instid1(VALU_DEP_1)
	s_cmp_lg_u32 s2, 0
	s_add_co_ci_u32 s23, s23, s27
	v_readfirstlane_b32 s22, v4
	s_wait_alu 0xfffe
	s_delay_alu instid0(VALU_DEP_1)
	s_mul_u64 s[24:25], s[24:25], s[22:23]
	s_wait_alu 0xfffe
	s_mul_hi_u32 s27, s22, s25
	s_mul_i32 s26, s22, s25
	s_mul_hi_u32 s2, s22, s24
	s_mul_i32 s28, s23, s24
	s_wait_alu 0xfffe
	s_add_nc_u64 s[26:27], s[2:3], s[26:27]
	s_mul_hi_u32 s21, s23, s24
	s_mul_hi_u32 s22, s23, s25
	s_wait_alu 0xfffe
	s_add_co_u32 s2, s26, s28
	s_add_co_ci_u32 s2, s27, s21
	s_mul_i32 s24, s23, s25
	s_add_co_ci_u32 s25, s22, 0
	s_wait_alu 0xfffe
	s_add_nc_u64 s[24:25], s[2:3], s[24:25]
	s_wait_alu 0xfffe
	v_add_co_u32 v4, s2, v4, s24
	s_delay_alu instid0(VALU_DEP_1) | instskip(SKIP_1) | instid1(VALU_DEP_1)
	s_cmp_lg_u32 s2, 0
	s_add_co_ci_u32 s2, s23, s25
	v_mul_hi_u32 v14, v5, v4
	s_wait_alu 0xfffe
	v_mad_co_u64_u32 v[7:8], null, v5, s2, 0
	v_mad_co_u64_u32 v[10:11], null, v6, v4, 0
	;; [unrolled: 1-line block ×3, first 2 shown]
	s_delay_alu instid0(VALU_DEP_3) | instskip(SKIP_1) | instid1(VALU_DEP_4)
	v_add_co_u32 v4, vcc_lo, v14, v7
	s_wait_alu 0xfffd
	v_add_co_ci_u32_e32 v7, vcc_lo, 0, v8, vcc_lo
	s_delay_alu instid0(VALU_DEP_2) | instskip(SKIP_1) | instid1(VALU_DEP_2)
	v_add_co_u32 v4, vcc_lo, v4, v10
	s_wait_alu 0xfffd
	v_add_co_ci_u32_e32 v4, vcc_lo, v7, v11, vcc_lo
	s_wait_alu 0xfffd
	v_add_co_ci_u32_e32 v7, vcc_lo, 0, v13, vcc_lo
	s_delay_alu instid0(VALU_DEP_2) | instskip(SKIP_1) | instid1(VALU_DEP_2)
	v_add_co_u32 v4, vcc_lo, v4, v12
	s_wait_alu 0xfffd
	v_add_co_ci_u32_e32 v10, vcc_lo, 0, v7, vcc_lo
	s_delay_alu instid0(VALU_DEP_2) | instskip(SKIP_1) | instid1(VALU_DEP_3)
	v_mul_lo_u32 v11, s19, v4
	v_mad_co_u64_u32 v[7:8], null, s18, v4, 0
	v_mul_lo_u32 v12, s18, v10
	s_delay_alu instid0(VALU_DEP_2) | instskip(NEXT) | instid1(VALU_DEP_2)
	v_sub_co_u32 v7, vcc_lo, v5, v7
	v_add3_u32 v8, v8, v12, v11
	s_delay_alu instid0(VALU_DEP_1) | instskip(SKIP_1) | instid1(VALU_DEP_1)
	v_sub_nc_u32_e32 v11, v6, v8
	s_wait_alu 0xfffd
	v_subrev_co_ci_u32_e64 v11, s2, s19, v11, vcc_lo
	v_add_co_u32 v12, s2, v4, 2
	s_wait_alu 0xf1ff
	v_add_co_ci_u32_e64 v13, s2, 0, v10, s2
	v_sub_co_u32 v14, s2, v7, s18
	v_sub_co_ci_u32_e32 v8, vcc_lo, v6, v8, vcc_lo
	s_wait_alu 0xf1ff
	v_subrev_co_ci_u32_e64 v11, s2, 0, v11, s2
	s_delay_alu instid0(VALU_DEP_3) | instskip(NEXT) | instid1(VALU_DEP_3)
	v_cmp_le_u32_e32 vcc_lo, s18, v14
	v_cmp_eq_u32_e64 s2, s19, v8
	s_wait_alu 0xfffd
	v_cndmask_b32_e64 v14, 0, -1, vcc_lo
	v_cmp_le_u32_e32 vcc_lo, s19, v11
	s_wait_alu 0xfffd
	v_cndmask_b32_e64 v15, 0, -1, vcc_lo
	v_cmp_le_u32_e32 vcc_lo, s18, v7
	;; [unrolled: 3-line block ×3, first 2 shown]
	s_wait_alu 0xfffd
	v_cndmask_b32_e64 v16, 0, -1, vcc_lo
	v_cmp_eq_u32_e32 vcc_lo, s19, v11
	s_wait_alu 0xf1ff
	s_delay_alu instid0(VALU_DEP_2)
	v_cndmask_b32_e64 v7, v16, v7, s2
	s_wait_alu 0xfffd
	v_cndmask_b32_e32 v11, v15, v14, vcc_lo
	v_add_co_u32 v14, vcc_lo, v4, 1
	s_wait_alu 0xfffd
	v_add_co_ci_u32_e32 v15, vcc_lo, 0, v10, vcc_lo
	s_delay_alu instid0(VALU_DEP_3) | instskip(SKIP_1) | instid1(VALU_DEP_2)
	v_cmp_ne_u32_e32 vcc_lo, 0, v11
	s_wait_alu 0xfffd
	v_dual_cndmask_b32 v8, v15, v13 :: v_dual_cndmask_b32 v11, v14, v12
	v_cmp_ne_u32_e32 vcc_lo, 0, v7
	s_wait_alu 0xfffd
	s_delay_alu instid0(VALU_DEP_2)
	v_dual_cndmask_b32 v8, v10, v8 :: v_dual_cndmask_b32 v7, v4, v11
.LBB0_4:                                ;   in Loop: Header=BB0_2 Depth=1
	s_wait_alu 0xfffe
	s_and_not1_saveexec_b32 s2, s20
	s_cbranch_execz .LBB0_6
; %bb.5:                                ;   in Loop: Header=BB0_2 Depth=1
	v_cvt_f32_u32_e32 v4, s18
	s_sub_co_i32 s20, 0, s18
	s_delay_alu instid0(VALU_DEP_1) | instskip(NEXT) | instid1(TRANS32_DEP_1)
	v_rcp_iflag_f32_e32 v4, v4
	v_mul_f32_e32 v4, 0x4f7ffffe, v4
	s_delay_alu instid0(VALU_DEP_1) | instskip(SKIP_1) | instid1(VALU_DEP_1)
	v_cvt_u32_f32_e32 v4, v4
	s_wait_alu 0xfffe
	v_mul_lo_u32 v7, s20, v4
	s_delay_alu instid0(VALU_DEP_1) | instskip(NEXT) | instid1(VALU_DEP_1)
	v_mul_hi_u32 v7, v4, v7
	v_add_nc_u32_e32 v4, v4, v7
	s_delay_alu instid0(VALU_DEP_1) | instskip(NEXT) | instid1(VALU_DEP_1)
	v_mul_hi_u32 v4, v5, v4
	v_mul_lo_u32 v7, v4, s18
	v_add_nc_u32_e32 v8, 1, v4
	s_delay_alu instid0(VALU_DEP_2) | instskip(NEXT) | instid1(VALU_DEP_1)
	v_sub_nc_u32_e32 v7, v5, v7
	v_subrev_nc_u32_e32 v10, s18, v7
	v_cmp_le_u32_e32 vcc_lo, s18, v7
	s_wait_alu 0xfffd
	s_delay_alu instid0(VALU_DEP_2) | instskip(NEXT) | instid1(VALU_DEP_1)
	v_dual_cndmask_b32 v7, v7, v10 :: v_dual_cndmask_b32 v4, v4, v8
	v_cmp_le_u32_e32 vcc_lo, s18, v7
	s_delay_alu instid0(VALU_DEP_2) | instskip(SKIP_1) | instid1(VALU_DEP_1)
	v_add_nc_u32_e32 v8, 1, v4
	s_wait_alu 0xfffd
	v_dual_cndmask_b32 v7, v4, v8 :: v_dual_mov_b32 v8, v3
.LBB0_6:                                ;   in Loop: Header=BB0_2 Depth=1
	s_wait_alu 0xfffe
	s_or_b32 exec_lo, exec_lo, s2
	s_load_b64 s[20:21], s[12:13], 0x0
	s_delay_alu instid0(VALU_DEP_1)
	v_mul_lo_u32 v4, v8, s18
	v_mul_lo_u32 v12, v7, s19
	v_mad_co_u64_u32 v[10:11], null, v7, s18, 0
	s_add_nc_u64 s[14:15], s[14:15], 1
	s_add_nc_u64 s[12:13], s[12:13], 8
	s_wait_alu 0xfffe
	v_cmp_ge_u64_e64 s2, s[14:15], s[6:7]
	s_add_nc_u64 s[16:17], s[16:17], 8
	s_delay_alu instid0(VALU_DEP_2) | instskip(NEXT) | instid1(VALU_DEP_3)
	v_add3_u32 v4, v11, v12, v4
	v_sub_co_u32 v5, vcc_lo, v5, v10
	s_wait_alu 0xfffd
	s_delay_alu instid0(VALU_DEP_2) | instskip(SKIP_3) | instid1(VALU_DEP_2)
	v_sub_co_ci_u32_e32 v4, vcc_lo, v6, v4, vcc_lo
	s_and_b32 vcc_lo, exec_lo, s2
	s_wait_kmcnt 0x0
	v_mul_lo_u32 v6, s21, v5
	v_mul_lo_u32 v4, s20, v4
	v_mad_co_u64_u32 v[1:2], null, s20, v5, v[1:2]
	s_delay_alu instid0(VALU_DEP_1)
	v_add3_u32 v2, v6, v2, v4
	s_wait_alu 0xfffe
	s_cbranch_vccnz .LBB0_9
; %bb.7:                                ;   in Loop: Header=BB0_2 Depth=1
	v_dual_mov_b32 v5, v7 :: v_dual_mov_b32 v6, v8
	s_branch .LBB0_2
.LBB0_8:
	v_dual_mov_b32 v8, v6 :: v_dual_mov_b32 v7, v5
.LBB0_9:
	s_lshl_b64 s[2:3], s[6:7], 3
	v_mul_hi_u32 v4, 0x2e8ba2f, v0
	s_wait_alu 0xfffe
	s_add_nc_u64 s[2:3], s[10:11], s[2:3]
                                        ; implicit-def: $vgpr12
                                        ; implicit-def: $vgpr10
                                        ; implicit-def: $vgpr15
                                        ; implicit-def: $vgpr11
                                        ; implicit-def: $vgpr13
                                        ; implicit-def: $vgpr14
	s_load_b64 s[2:3], s[2:3], 0x0
	s_load_b64 s[0:1], s[0:1], 0x20
	s_delay_alu instid0(VALU_DEP_1) | instskip(NEXT) | instid1(VALU_DEP_1)
	v_mul_u32_u24_e32 v4, 0x58, v4
	v_sub_nc_u32_e32 v0, v0, v4
	v_mov_b32_e32 v4, 0
	s_wait_kmcnt 0x0
	v_mul_lo_u32 v5, s2, v8
	v_mul_lo_u32 v6, s3, v7
	v_mad_co_u64_u32 v[2:3], null, s2, v7, v[1:2]
	v_cmp_gt_u64_e32 vcc_lo, s[0:1], v[7:8]
	v_mov_b32_e32 v1, 0
                                        ; implicit-def: $vgpr7
                                        ; implicit-def: $vgpr8
	s_delay_alu instid0(VALU_DEP_3) | instskip(SKIP_1) | instid1(VALU_DEP_2)
	v_add3_u32 v3, v6, v3, v5
	v_dual_mov_b32 v6, 0 :: v_dual_mov_b32 v5, 0
	v_lshlrev_b64_e32 v[2:3], 2, v[2:3]
	s_and_saveexec_b32 s1, vcc_lo
	s_cbranch_execz .LBB0_11
; %bb.10:
	v_mov_b32_e32 v1, 0
	s_delay_alu instid0(VALU_DEP_1) | instskip(NEXT) | instid1(VALU_DEP_3)
	v_lshlrev_b64_e32 v[4:5], 2, v[0:1]
	v_add_co_u32 v1, s0, s8, v2
	s_wait_alu 0xf1ff
	v_add_co_ci_u32_e64 v6, s0, s9, v3, s0
	s_delay_alu instid0(VALU_DEP_2) | instskip(SKIP_1) | instid1(VALU_DEP_2)
	v_add_co_u32 v12, s0, v1, v4
	s_wait_alu 0xf1ff
	v_add_co_ci_u32_e64 v13, s0, v6, v5, s0
	s_clause 0x7
	global_load_b32 v10, v[12:13], off offset:1408
	global_load_b32 v11, v[12:13], off offset:1760
	;; [unrolled: 1-line block ×4, first 2 shown]
	global_load_b32 v1, v[12:13], off
	global_load_b32 v6, v[12:13], off offset:352
	global_load_b32 v5, v[12:13], off offset:704
	;; [unrolled: 1-line block ×3, first 2 shown]
	s_wait_loadcnt 0x7
	v_lshrrev_b32_e32 v12, 16, v10
	s_wait_loadcnt 0x6
	v_lshrrev_b32_e32 v15, 16, v11
	;; [unrolled: 2-line block ×4, first 2 shown]
.LBB0_11:
	s_wait_alu 0xfffe
	s_or_b32 exec_lo, exec_lo, s1
	v_and_b32_e32 v9, 1, v9
	s_wait_loadcnt 0x3
	v_lshrrev_b32_e32 v16, 16, v1
	v_sub_f16_e32 v10, v1, v10
	s_wait_loadcnt 0x1
	v_lshrrev_b32_e32 v19, 16, v5
	v_lshrrev_b32_e32 v17, 16, v6
	v_cmp_eq_u32_e64 s0, 1, v9
	v_sub_f16_e32 v18, v16, v12
	s_wait_loadcnt 0x0
	v_lshrrev_b32_e32 v9, 16, v4
	v_sub_f16_e32 v11, v6, v11
	v_fma_f16 v20, v1, 2.0, -v10
	s_wait_alu 0xf1ff
	v_cndmask_b32_e64 v12, 0, 0x2c0, s0
	v_sub_f16_e32 v21, v19, v13
	v_sub_f16_e32 v13, v4, v8
	;; [unrolled: 1-line block ×4, first 2 shown]
	v_lshlrev_b32_e32 v1, 1, v12
	v_lshl_add_u32 v23, v0, 2, 0
	v_sub_f16_e32 v15, v17, v15
	v_fma_f16 v6, v6, 2.0, -v11
	v_fma_f16 v22, v4, 2.0, -v13
	v_lshlrev_b32_e32 v4, 1, v0
	v_add_nc_u32_e32 v25, 0x58, v0
	v_add_nc_u32_e32 v26, 0, v1
	v_fma_f16 v5, v5, 2.0, -v7
	v_fma_f16 v24, v9, 2.0, -v14
	v_add_nc_u32_e32 v9, 0xb0, v0
	v_add_nc_u32_e32 v8, 0x108, v0
	v_fma_f16 v16, v16, 2.0, -v18
	v_add_nc_u32_e32 v27, v23, v1
	v_pack_b32_f16 v10, v20, v10
	v_fma_f16 v17, v17, 2.0, -v15
	v_lshl_add_u32 v20, v25, 2, v26
	v_pack_b32_f16 v6, v6, v11
	v_pack_b32_f16 v11, v22, v13
	v_sub_nc_u32_e32 v13, v23, v4
	v_fma_f16 v19, v19, 2.0, -v21
	v_lshl_add_u32 v28, v9, 2, v26
	v_pack_b32_f16 v5, v5, v7
	v_lshl_add_u32 v7, v8, 2, v26
	ds_store_b32 v27, v10
	ds_store_b32 v20, v6
	;; [unrolled: 1-line block ×4, first 2 shown]
	v_add_nc_u32_e32 v10, v26, v4
	v_pack_b32_f16 v16, v16, v18
	v_and_b32_e32 v18, 1, v0
	v_add_nc_u32_e32 v11, v13, v1
	v_pack_b32_f16 v15, v17, v15
	v_pack_b32_f16 v17, v19, v21
	v_pack_b32_f16 v14, v24, v14
	global_wb scope:SCOPE_SE
	s_wait_dscnt 0x0
	s_barrier_signal -1
	s_barrier_wait -1
	global_inv scope:SCOPE_SE
	ds_load_u16 v5, v10
	ds_load_u16 v6, v11 offset:176
	ds_load_u16 v22, v11 offset:352
	;; [unrolled: 1-line block ×7, first 2 shown]
	global_wb scope:SCOPE_SE
	s_wait_dscnt 0x0
	s_barrier_signal -1
	s_barrier_wait -1
	global_inv scope:SCOPE_SE
	ds_store_b32 v27, v16
	ds_store_b32 v20, v15
	;; [unrolled: 1-line block ×4, first 2 shown]
	v_lshlrev_b32_e32 v7, 2, v18
	global_wb scope:SCOPE_SE
	s_wait_dscnt 0x0
	s_barrier_signal -1
	s_barrier_wait -1
	global_inv scope:SCOPE_SE
	global_load_b32 v7, v7, s[4:5]
	ds_load_u16 v21, v11 offset:704
	v_lshlrev_b32_e32 v15, 1, v25
	ds_load_u16 v25, v11 offset:880
	ds_load_u16 v28, v11 offset:1056
	;; [unrolled: 1-line block ×3, first 2 shown]
	ds_load_u16 v34, v10
	ds_load_u16 v35, v11 offset:176
	ds_load_u16 v36, v11 offset:352
	;; [unrolled: 1-line block ×3, first 2 shown]
	v_lshlrev_b32_e32 v16, 1, v9
	v_and_b32_e32 v14, 3, v0
	v_lshlrev_b32_e32 v19, 1, v8
	v_and_or_b32 v17, 0xfc, v4, v18
	v_and_or_b32 v24, 0x1fc, v15, v18
	v_and_or_b32 v27, 0x3fc, v16, v18
	v_lshlrev_b32_e32 v20, 2, v14
	v_and_or_b32 v18, 0x3fc, v19, v18
	v_lshl_add_u32 v17, v17, 1, v26
	v_lshl_add_u32 v24, v24, 1, v26
	;; [unrolled: 1-line block ×3, first 2 shown]
	global_wb scope:SCOPE_SE
	s_wait_loadcnt_dscnt 0x0
	v_lshl_add_u32 v18, v18, 1, v26
	s_barrier_signal -1
	s_barrier_wait -1
	global_inv scope:SCOPE_SE
	v_cmp_gt_u32_e64 s0, 64, v0
	v_lshrrev_b32_e32 v38, 16, v7
	s_delay_alu instid0(VALU_DEP_1)
	v_mul_f16_e32 v39, v21, v38
	v_mul_f16_e32 v40, v31, v38
	;; [unrolled: 1-line block ×8, first 2 shown]
	v_fmac_f16_e32 v39, v31, v7
	v_fma_f16 v21, v21, v7, -v40
	v_fmac_f16_e32 v41, v23, v7
	v_fma_f16 v23, v25, v7, -v42
	;; [unrolled: 2-line block ×4, first 2 shown]
	v_sub_f16_e32 v28, v5, v39
	v_sub_f16_e32 v21, v34, v21
	;; [unrolled: 1-line block ×8, first 2 shown]
	v_fma_f16 v5, v5, 2.0, -v28
	v_fma_f16 v33, v34, 2.0, -v21
	;; [unrolled: 1-line block ×8, first 2 shown]
	ds_store_b16 v17, v5
	ds_store_b16 v17, v28 offset:4
	ds_store_b16 v24, v6
	ds_store_b16 v24, v29 offset:4
	;; [unrolled: 2-line block ×4, first 2 shown]
	global_wb scope:SCOPE_SE
	s_wait_dscnt 0x0
	s_barrier_signal -1
	s_barrier_wait -1
	global_inv scope:SCOPE_SE
	ds_load_u16 v5, v10
	ds_load_u16 v6, v11 offset:176
	ds_load_u16 v22, v11 offset:352
	;; [unrolled: 1-line block ×7, first 2 shown]
	global_wb scope:SCOPE_SE
	s_wait_dscnt 0x0
	s_barrier_signal -1
	s_barrier_wait -1
	global_inv scope:SCOPE_SE
	ds_store_b16 v17, v33
	ds_store_b16 v17, v21 offset:4
	ds_store_b16 v24, v34
	ds_store_b16 v24, v23 offset:4
	;; [unrolled: 2-line block ×4, first 2 shown]
	global_wb scope:SCOPE_SE
	s_wait_dscnt 0x0
	s_barrier_signal -1
	s_barrier_wait -1
	global_inv scope:SCOPE_SE
	global_load_b32 v7, v20, s[4:5] offset:8
	ds_load_u16 v18, v11 offset:704
	ds_load_u16 v24, v11 offset:880
	;; [unrolled: 1-line block ×4, first 2 shown]
	v_and_or_b32 v17, 0xf8, v4, v14
	v_and_or_b32 v23, 0x1f8, v15, v14
	;; [unrolled: 1-line block ×4, first 2 shown]
	v_and_b32_e32 v20, 7, v0
	v_lshl_add_u32 v17, v17, 1, v26
	v_lshl_add_u32 v23, v23, 1, v26
	;; [unrolled: 1-line block ×4, first 2 shown]
	ds_load_u16 v14, v10
	ds_load_u16 v35, v11 offset:176
	ds_load_u16 v36, v11 offset:352
	;; [unrolled: 1-line block ×3, first 2 shown]
	v_lshlrev_b32_e32 v21, 2, v20
	global_wb scope:SCOPE_SE
	s_wait_loadcnt_dscnt 0x0
	s_barrier_signal -1
	s_barrier_wait -1
	global_inv scope:SCOPE_SE
	v_and_or_b32 v15, 0x1f0, v15, v20
	v_and_or_b32 v19, 0x3f0, v19, v20
	v_and_or_b32 v16, 0x3f0, v16, v20
	v_lshrrev_b32_e32 v38, 16, v7
	s_delay_alu instid0(VALU_DEP_1)
	v_mul_f16_e32 v39, v18, v38
	v_mul_f16_e32 v40, v31, v38
	;; [unrolled: 1-line block ×8, first 2 shown]
	v_fmac_f16_e32 v39, v31, v7
	v_fma_f16 v18, v18, v7, -v40
	v_fmac_f16_e32 v41, v28, v7
	v_fma_f16 v24, v24, v7, -v42
	;; [unrolled: 2-line block ×4, first 2 shown]
	v_sub_f16_e32 v28, v5, v39
	v_sub_f16_e32 v29, v14, v18
	v_sub_f16_e32 v18, v6, v41
	v_sub_f16_e32 v24, v35, v24
	v_sub_f16_e32 v30, v22, v43
	v_sub_f16_e32 v27, v36, v27
	v_sub_f16_e32 v31, v32, v45
	v_sub_f16_e32 v7, v37, v7
	v_fma_f16 v5, v5, 2.0, -v28
	v_fma_f16 v33, v14, 2.0, -v29
	;; [unrolled: 1-line block ×8, first 2 shown]
	ds_store_b16 v17, v5
	ds_store_b16 v17, v28 offset:8
	ds_store_b16 v23, v6
	ds_store_b16 v23, v18 offset:8
	;; [unrolled: 2-line block ×4, first 2 shown]
	global_wb scope:SCOPE_SE
	s_wait_dscnt 0x0
	s_barrier_signal -1
	s_barrier_wait -1
	global_inv scope:SCOPE_SE
	ds_load_u16 v28, v10
	ds_load_u16 v32, v11 offset:176
	ds_load_u16 v42, v11 offset:352
	;; [unrolled: 1-line block ×7, first 2 shown]
	global_wb scope:SCOPE_SE
	s_wait_dscnt 0x0
	s_barrier_signal -1
	s_barrier_wait -1
	global_inv scope:SCOPE_SE
	ds_store_b16 v17, v33
	ds_store_b16 v17, v29 offset:8
	ds_store_b16 v23, v35
	ds_store_b16 v23, v24 offset:8
	;; [unrolled: 2-line block ×4, first 2 shown]
	global_wb scope:SCOPE_SE
	s_wait_dscnt 0x0
	s_barrier_signal -1
	s_barrier_wait -1
	global_inv scope:SCOPE_SE
	global_load_b32 v17, v21, s[4:5] offset:24
	ds_load_u16 v30, v11 offset:704
	ds_load_u16 v22, v11 offset:880
	;; [unrolled: 1-line block ×4, first 2 shown]
	v_and_or_b32 v7, 0xf0, v4, v20
	ds_load_u16 v37, v10
	ds_load_u16 v35, v11 offset:176
	ds_load_u16 v36, v11 offset:352
	;; [unrolled: 1-line block ×3, first 2 shown]
	v_lshl_add_u32 v39, v15, 1, v26
	v_lshl_add_u32 v34, v19, 1, v26
	;; [unrolled: 1-line block ×4, first 2 shown]
	global_wb scope:SCOPE_SE
	s_wait_loadcnt_dscnt 0x0
	s_barrier_signal -1
	s_barrier_wait -1
	global_inv scope:SCOPE_SE
                                        ; implicit-def: $vgpr26
                                        ; implicit-def: $vgpr27
	v_lshrrev_b32_e32 v31, 16, v17
	s_delay_alu instid0(VALU_DEP_1) | instskip(SKIP_3) | instid1(VALU_DEP_4)
	v_mul_f16_e32 v7, v30, v31
	v_mul_f16_e32 v15, v22, v31
	;; [unrolled: 1-line block ×4, first 2 shown]
	v_fmac_f16_e32 v7, v18, v17
	s_delay_alu instid0(VALU_DEP_4) | instskip(NEXT) | instid1(VALU_DEP_4)
	v_fmac_f16_e32 v15, v14, v17
	v_fmac_f16_e32 v19, v6, v17
	s_delay_alu instid0(VALU_DEP_4) | instskip(NEXT) | instid1(VALU_DEP_4)
	v_fmac_f16_e32 v21, v5, v17
	v_sub_f16_e32 v16, v28, v7
	s_delay_alu instid0(VALU_DEP_4) | instskip(NEXT) | instid1(VALU_DEP_4)
	v_sub_f16_e32 v20, v32, v15
	v_sub_f16_e32 v15, v42, v19
	s_delay_alu instid0(VALU_DEP_4) | instskip(NEXT) | instid1(VALU_DEP_4)
	v_sub_f16_e32 v7, v43, v21
	v_fma_f16 v19, v28, 2.0, -v16
	s_delay_alu instid0(VALU_DEP_4) | instskip(NEXT) | instid1(VALU_DEP_4)
	v_fma_f16 v24, v32, 2.0, -v20
	v_fma_f16 v25, v42, 2.0, -v15
	s_delay_alu instid0(VALU_DEP_4)
	v_fma_f16 v21, v43, 2.0, -v7
	ds_store_b16 v40, v19
	ds_store_b16 v40, v16 offset:16
	ds_store_b16 v39, v24
	ds_store_b16 v39, v20 offset:16
	;; [unrolled: 2-line block ×4, first 2 shown]
	global_wb scope:SCOPE_SE
	s_wait_dscnt 0x0
	s_barrier_signal -1
	s_barrier_wait -1
	global_inv scope:SCOPE_SE
                                        ; implicit-def: $vgpr28
	s_and_saveexec_b32 s1, s0
	s_cbranch_execz .LBB0_13
; %bb.12:
	v_add3_u32 v26, 0, v4, v1
	ds_load_u16 v19, v10
	ds_load_u16 v16, v26 offset:128
	ds_load_u16 v24, v26 offset:256
	;; [unrolled: 1-line block ×10, first 2 shown]
.LBB0_13:
	s_wait_alu 0xfffe
	s_or_b32 exec_lo, exec_lo, s1
	v_mul_f16_e32 v18, v18, v31
	v_mul_f16_e32 v14, v14, v31
	;; [unrolled: 1-line block ×4, first 2 shown]
	global_wb scope:SCOPE_SE
	s_wait_dscnt 0x0
	v_fma_f16 v18, v30, v17, -v18
	v_fma_f16 v14, v22, v17, -v14
	;; [unrolled: 1-line block ×4, first 2 shown]
	s_barrier_signal -1
	v_sub_f16_e32 v33, v37, v18
	v_sub_f16_e32 v32, v35, v14
	;; [unrolled: 1-line block ×4, first 2 shown]
	s_barrier_wait -1
	v_fma_f16 v5, v37, 2.0, -v33
	v_fma_f16 v37, v35, 2.0, -v32
	;; [unrolled: 1-line block ×4, first 2 shown]
	global_inv scope:SCOPE_SE
	ds_store_b16 v40, v5
	ds_store_b16 v40, v33 offset:16
	ds_store_b16 v39, v37
	ds_store_b16 v39, v32 offset:16
	;; [unrolled: 2-line block ×4, first 2 shown]
	global_wb scope:SCOPE_SE
	s_wait_dscnt 0x0
	s_barrier_signal -1
	s_barrier_wait -1
	global_inv scope:SCOPE_SE
                                        ; implicit-def: $vgpr41
                                        ; implicit-def: $vgpr42
                                        ; implicit-def: $vgpr43
	s_and_saveexec_b32 s1, s0
	s_cbranch_execz .LBB0_15
; %bb.14:
	v_add3_u32 v4, 0, v4, v1
	ds_load_u16 v5, v10
	ds_load_u16 v33, v4 offset:128
	ds_load_u16 v37, v4 offset:256
	;; [unrolled: 1-line block ×10, first 2 shown]
.LBB0_15:
	s_wait_alu 0xfffe
	s_or_b32 exec_lo, exec_lo, s1
	v_and_b32_e32 v4, 15, v0
	s_delay_alu instid0(VALU_DEP_1) | instskip(NEXT) | instid1(VALU_DEP_1)
	v_mul_u32_u24_e32 v6, 10, v4
	v_lshlrev_b32_e32 v6, 2, v6
	s_clause 0x2
	global_load_b128 v[44:47], v6, s[4:5] offset:56
	global_load_b128 v[48:51], v6, s[4:5] offset:72
	global_load_b64 v[52:53], v6, s[4:5] offset:88
	global_wb scope:SCOPE_SE
	s_wait_loadcnt_dscnt 0x0
	s_barrier_signal -1
	s_barrier_wait -1
	global_inv scope:SCOPE_SE
	v_lshrrev_b32_e32 v6, 16, v44
	v_lshrrev_b32_e32 v14, 16, v45
	;; [unrolled: 1-line block ×10, first 2 shown]
	v_mul_f16_e32 v38, v33, v6
	v_mul_f16_e32 v56, v16, v6
	v_mul_f16_e32 v30, v37, v14
	v_mul_f16_e32 v57, v24, v14
	v_mul_f16_e32 v22, v32, v17
	v_mul_f16_e32 v58, v20, v17
	v_mul_f16_e32 v17, v36, v18
	v_mul_f16_e32 v59, v25, v18
	v_mul_f16_e32 v6, v31, v23
	v_mul_f16_e32 v60, v15, v23
	v_mul_f16_e32 v14, v35, v34
	v_mul_f16_e32 v61, v21, v34
	v_mul_f16_e32 v18, v29, v39
	v_mul_f16_e32 v62, v7, v39
	v_mul_f16_e32 v23, v43, v40
	v_mul_f16_e32 v63, v28, v40
	v_mul_f16_e32 v34, v42, v54
	v_mul_f16_e32 v54, v27, v54
	v_mul_f16_e32 v39, v41, v55
	v_mul_f16_e32 v55, v26, v55
	v_fmac_f16_e32 v38, v16, v44
	v_fma_f16 v40, v33, v44, -v56
	v_fmac_f16_e32 v30, v24, v45
	v_fma_f16 v37, v37, v45, -v57
	;; [unrolled: 2-line block ×10, first 2 shown]
	v_lshrrev_b32_e32 v7, 4, v0
	s_and_saveexec_b32 s1, s0
	s_cbranch_execz .LBB0_17
; %bb.16:
	s_delay_alu instid0(VALU_DEP_2)
	v_sub_f16_e32 v31, v40, v26
	v_add_f16_e32 v29, v38, v39
	v_sub_f16_e32 v33, v37, v27
	v_add_f16_e32 v32, v30, v34
	v_sub_f16_e32 v36, v24, v25
	v_mul_f16_e32 v45, 0xb482, v31
	v_add_f16_e32 v35, v22, v23
	v_mul_f16_e32 v46, 0x3853, v33
	v_sub_f16_e32 v42, v20, v21
	v_mul_f16_e32 v47, 0xba0c, v36
	v_fma_f16 v50, v29, 0xbbad, -v45
	v_fmac_f16_e32 v45, 0xbbad, v29
	v_fma_f16 v53, v32, 0x3abb, -v46
	v_fmac_f16_e32 v46, 0x3abb, v32
	v_add_f16_e32 v41, v17, v18
	v_add_f16_e32 v50, v19, v50
	;; [unrolled: 1-line block ×3, first 2 shown]
	v_sub_f16_e32 v44, v15, v16
	v_mul_f16_e32 v48, 0x3b47, v42
	v_fma_f16 v54, v35, 0xb93d, -v47
	v_add_f16_e32 v50, v53, v50
	v_fmac_f16_e32 v47, 0xb93d, v35
	v_add_f16_e32 v45, v46, v45
	v_add_f16_e32 v43, v6, v14
	v_mul_f16_e32 v49, 0xbbeb, v44
	v_mul_f16_e32 v51, 0xba0c, v31
	v_fma_f16 v55, v41, 0x36a6, -v48
	v_add_f16_e32 v50, v54, v50
	v_fmac_f16_e32 v48, 0x36a6, v41
	v_add_f16_e32 v45, v47, v45
	v_mul_f16_e32 v52, 0x3beb, v33
	v_fma_f16 v53, v43, 0xb08e, -v49
	v_fma_f16 v54, v29, 0xb93d, -v51
	v_add_f16_e32 v46, v55, v50
	v_add_f16_e32 v45, v48, v45
	v_fmac_f16_e32 v49, 0xb08e, v43
	v_fmac_f16_e32 v51, 0xb93d, v29
	v_add_f16_e32 v50, v19, v54
	v_add_f16_e32 v46, v53, v46
	v_fma_f16 v47, v32, 0xb08e, -v52
	v_mul_f16_e32 v53, 0xb853, v36
	v_add_f16_e32 v45, v49, v45
	v_add_f16_e32 v49, v19, v51
	v_fmac_f16_e32 v52, 0xb08e, v32
	v_add_f16_e32 v47, v47, v50
	v_fma_f16 v48, v35, 0x3abb, -v53
	v_mul_f16_e32 v50, 0xb482, v42
	v_fmac_f16_e32 v53, 0x3abb, v35
	v_add_f16_e32 v49, v52, v49
	v_mul_f16_e32 v51, 0x3b47, v44
	v_add_f16_e32 v47, v48, v47
	v_fma_f16 v48, v41, 0xbbad, -v50
	v_mul_f16_e32 v54, 0xbbeb, v31
	v_add_f16_e32 v49, v53, v49
	v_fmac_f16_e32 v50, 0xbbad, v41
	v_mul_f16_e32 v55, 0x3482, v33
	v_add_f16_e32 v47, v48, v47
	v_fma_f16 v48, v43, 0x36a6, -v51
	v_fma_f16 v52, v29, 0xb08e, -v54
	v_add_f16_e32 v49, v50, v49
	v_fmac_f16_e32 v51, 0x36a6, v43
	v_fmac_f16_e32 v54, 0xb08e, v29
	v_add_f16_e32 v47, v48, v47
	v_add_f16_e32 v48, v19, v52
	v_fma_f16 v52, v32, 0xbbad, -v55
	v_mul_f16_e32 v53, 0x3b47, v36
	v_add_f16_e32 v49, v51, v49
	v_add_f16_e32 v51, v19, v54
	v_fmac_f16_e32 v55, 0xbbad, v32
	v_add_f16_e32 v28, v19, v38
	v_add_f16_e32 v48, v52, v48
	v_fma_f16 v50, v35, 0x36a6, -v53
	v_mul_f16_e32 v52, 0xb853, v42
	v_add_f16_e32 v51, v55, v51
	v_fmac_f16_e32 v53, 0x36a6, v35
	v_add_f16_e32 v28, v28, v30
	v_add_f16_e32 v48, v50, v48
	v_fma_f16 v50, v41, 0x3abb, -v52
	v_mul_f16_e32 v54, 0xba0c, v44
	v_mul_f16_e32 v56, 0xbb47, v31
	v_add_f16_e32 v51, v53, v51
	v_fmac_f16_e32 v52, 0x3abb, v41
	v_add_f16_e32 v28, v28, v22
	v_add_f16_e32 v48, v50, v48
	v_fma_f16 v50, v43, 0xb93d, -v54
	v_fma_f16 v55, v29, 0x36a6, -v56
	v_mul_f16_e32 v57, 0xba0c, v33
	v_add_f16_e32 v51, v52, v51
	v_fmac_f16_e32 v54, 0xb93d, v43
	v_fmac_f16_e32 v56, 0x36a6, v29
	v_add_f16_e32 v28, v28, v17
	v_add_f16_e32 v48, v50, v48
	;; [unrolled: 1-line block ×3, first 2 shown]
	v_fma_f16 v53, v32, 0xb93d, -v57
	v_mul_f16_e32 v55, 0x3482, v36
	v_add_f16_e32 v51, v54, v51
	v_add_f16_e32 v54, v19, v56
	v_fmac_f16_e32 v57, 0xb93d, v32
	v_mul_f16_e32 v31, 0xb853, v31
	v_add_f16_e32 v28, v28, v6
	v_fma_f16 v52, v35, 0xbbad, -v55
	v_fmac_f16_e32 v55, 0xbbad, v35
	v_add_f16_e32 v54, v57, v54
	v_mul_f16_e32 v33, 0xbb47, v33
	v_fma_f16 v57, v29, 0x3abb, -v31
	v_fmac_f16_e32 v31, 0x3abb, v29
	v_add_f16_e32 v28, v28, v14
	v_add_f16_e32 v54, v55, v54
	v_fma_f16 v55, v32, 0x36a6, -v33
	v_fmac_f16_e32 v33, 0x36a6, v32
	v_add_f16_e32 v31, v19, v31
	v_mul_f16_e32 v36, 0xbbeb, v36
	v_add_f16_e32 v28, v28, v18
	v_add_f16_e32 v19, v19, v57
	;; [unrolled: 1-line block ×4, first 2 shown]
	v_mul_u32_u24_e32 v33, 0xb0, v7
	v_mul_f16_e32 v53, 0x3beb, v42
	v_fma_f16 v32, v35, 0xb08e, -v36
	v_mul_f16_e32 v42, 0xba0c, v42
	v_fmac_f16_e32 v36, 0xb08e, v35
	v_add_f16_e32 v28, v28, v23
	v_add_f16_e32 v19, v55, v19
	v_or_b32_e32 v33, v33, v4
	v_mul_f16_e32 v56, 0x3853, v44
	v_fma_f16 v35, v41, 0xb93d, -v42
	v_mul_f16_e32 v44, 0xb482, v44
	v_add_f16_e32 v31, v36, v31
	v_fmac_f16_e32 v42, 0xb93d, v41
	v_add_f16_e32 v50, v52, v50
	v_fma_f16 v52, v41, 0xb08e, -v53
	v_fmac_f16_e32 v53, 0xb08e, v41
	v_add_f16_e32 v28, v28, v34
	v_add_f16_e32 v19, v32, v19
	v_lshlrev_b32_e32 v33, 1, v33
	v_fma_f16 v32, v43, 0xbbad, -v44
	v_add_f16_e32 v31, v42, v31
	v_fmac_f16_e32 v44, 0xbbad, v43
	v_fma_f16 v29, v43, 0x3abb, -v56
	v_add_f16_e32 v36, v53, v54
	v_fmac_f16_e32 v56, 0x3abb, v43
	v_add_f16_e32 v28, v28, v39
	v_add_f16_e32 v41, v52, v50
	;; [unrolled: 1-line block ×3, first 2 shown]
	v_add3_u32 v33, 0, v33, v1
	v_add_f16_e32 v31, v44, v31
	v_add_f16_e32 v35, v56, v36
	;; [unrolled: 1-line block ×4, first 2 shown]
	ds_store_b16 v33, v28
	ds_store_b16 v33, v31 offset:32
	ds_store_b16 v33, v35 offset:64
	;; [unrolled: 1-line block ×10, first 2 shown]
.LBB0_17:
	s_wait_alu 0xfffe
	s_or_b32 exec_lo, exec_lo, s1
	global_wb scope:SCOPE_SE
	s_wait_dscnt 0x0
	s_barrier_signal -1
	s_barrier_wait -1
	global_inv scope:SCOPE_SE
	ds_load_u16 v19, v10
	ds_load_u16 v28, v11 offset:176
	ds_load_u16 v29, v11 offset:352
	;; [unrolled: 1-line block ×7, first 2 shown]
	global_wb scope:SCOPE_SE
	s_wait_dscnt 0x0
	s_barrier_signal -1
	s_barrier_wait -1
	global_inv scope:SCOPE_SE
	s_and_saveexec_b32 s1, s0
	s_cbranch_execz .LBB0_19
; %bb.18:
	v_add_f16_e32 v41, v5, v40
	v_sub_f16_e32 v30, v30, v34
	v_add_f16_e32 v40, v40, v26
	v_sub_f16_e32 v38, v38, v39
	v_add_f16_e32 v39, v37, v27
	v_add_f16_e32 v34, v41, v37
	v_sub_f16_e32 v22, v22, v23
	v_mul_f16_e32 v37, 0x3abb, v40
	v_mul_f16_e32 v41, 0x36a6, v40
	;; [unrolled: 1-line block ×3, first 2 shown]
	v_add_f16_e32 v34, v34, v24
	v_mul_f16_e32 v43, 0xb93d, v40
	v_mul_f16_e32 v40, 0xbbad, v40
	;; [unrolled: 1-line block ×3, first 2 shown]
	v_fmamk_f16 v47, v38, 0x3853, v37
	v_add_f16_e32 v34, v34, v20
	v_fmac_f16_e32 v37, 0xb853, v38
	v_mul_f16_e32 v45, 0xb93d, v39
	v_fmamk_f16 v48, v38, 0x3b47, v41
	v_fmac_f16_e32 v41, 0xbb47, v38
	v_add_f16_e32 v34, v34, v15
	v_fmamk_f16 v49, v38, 0x3beb, v42
	v_fmac_f16_e32 v42, 0xbbeb, v38
	v_fmamk_f16 v50, v38, 0x3a0c, v43
	v_fmac_f16_e32 v43, 0xba0c, v38
	v_add_f16_e32 v34, v34, v16
	v_fmamk_f16 v51, v38, 0x3482, v40
	v_fmac_f16_e32 v40, 0xb482, v38
	v_fmamk_f16 v38, v30, 0x3b47, v44
	v_fmac_f16_e32 v44, 0xbb47, v30
	v_add_f16_e32 v34, v34, v21
	v_add_f16_e32 v37, v5, v37
	v_fmamk_f16 v52, v30, 0x3a0c, v45
	v_add_f16_e32 v41, v5, v41
	v_fmac_f16_e32 v45, 0xba0c, v30
	v_add_f16_e32 v34, v34, v25
	v_mul_f16_e32 v46, 0xbbad, v39
	v_add_f16_e32 v50, v5, v50
	v_add_f16_e32 v24, v24, v25
	v_add_f16_e32 v41, v45, v41
	v_add_f16_e32 v27, v34, v27
	v_add_f16_e32 v34, v5, v43
	v_add_f16_e32 v47, v5, v47
	v_add_f16_e32 v48, v5, v48
	v_add_f16_e32 v49, v5, v49
	v_add_f16_e32 v26, v27, v26
	v_add_f16_e32 v27, v44, v37
	v_mul_f16_e32 v37, 0xb08e, v39
	v_mul_f16_e32 v39, 0x3abb, v39
	v_add_f16_e32 v42, v5, v42
	v_add_f16_e32 v43, v5, v51
	;; [unrolled: 1-line block ×3, first 2 shown]
	v_fmamk_f16 v45, v30, 0xbbeb, v37
	v_fmac_f16_e32 v37, 0x3beb, v30
	v_fmamk_f16 v40, v30, 0xb482, v46
	v_fmac_f16_e32 v46, 0x3482, v30
	v_mul_f16_e32 v23, 0xb08e, v24
	v_add_f16_e32 v25, v45, v50
	v_fmamk_f16 v45, v30, 0xb853, v39
	v_fmac_f16_e32 v39, 0x3853, v30
	v_add_f16_e32 v30, v37, v34
	v_mul_f16_e32 v37, 0xbbad, v24
	v_add_f16_e32 v40, v40, v49
	v_add_f16_e32 v34, v45, v43
	v_fmamk_f16 v43, v22, 0x3beb, v23
	v_add_f16_e32 v5, v39, v5
	v_fmac_f16_e32 v23, 0xbbeb, v22
	v_mul_f16_e32 v39, 0x36a6, v24
	v_fmamk_f16 v45, v22, 0xb482, v37
	v_fmac_f16_e32 v37, 0x3482, v22
	v_add_f16_e32 v20, v20, v21
	v_add_f16_e32 v23, v23, v27
	v_fmamk_f16 v27, v22, 0xbb47, v39
	v_sub_f16_e32 v17, v17, v18
	v_add_f16_e32 v37, v37, v41
	v_mul_f16_e32 v41, 0x3abb, v24
	v_mul_f16_e32 v24, 0xb93d, v24
	v_add_f16_e32 v27, v27, v40
	v_mul_f16_e32 v18, 0xb93d, v20
	v_add_f16_e32 v38, v38, v47
	v_fmamk_f16 v21, v22, 0x3853, v41
	v_fmac_f16_e32 v41, 0xb853, v22
	v_fmamk_f16 v40, v22, 0x3a0c, v24
	v_fmac_f16_e32 v24, 0xba0c, v22
	v_fmac_f16_e32 v39, 0x3b47, v22
	v_add_f16_e32 v21, v21, v25
	v_add_f16_e32 v25, v41, v30
	;; [unrolled: 1-line block ×3, first 2 shown]
	v_fmamk_f16 v30, v17, 0x3a0c, v18
	v_fmac_f16_e32 v18, 0xba0c, v17
	v_add_f16_e32 v5, v24, v5
	v_mul_f16_e32 v24, 0x3abb, v20
	v_mul_f16_e32 v40, 0xbbad, v20
	v_add_f16_e32 v15, v15, v16
	v_add_f16_e32 v44, v52, v48
	;; [unrolled: 1-line block ×3, first 2 shown]
	v_mul_f16_e32 v34, 0xb08e, v20
	v_add_f16_e32 v18, v18, v23
	v_fmamk_f16 v23, v17, 0x3853, v24
	v_fmamk_f16 v16, v17, 0x3482, v40
	v_mul_f16_e32 v20, 0x36a6, v20
	v_fmac_f16_e32 v40, 0xb482, v17
	v_sub_f16_e32 v6, v6, v14
	v_mul_f16_e32 v14, 0xbbad, v15
	v_add_f16_e32 v42, v46, v42
	v_add_f16_e32 v43, v45, v44
	;; [unrolled: 1-line block ×3, first 2 shown]
	v_fmamk_f16 v38, v17, 0xbbeb, v34
	v_fmac_f16_e32 v34, 0x3beb, v17
	v_fmac_f16_e32 v24, 0xb853, v17
	v_add_f16_e32 v23, v23, v27
	v_add_f16_e32 v16, v16, v21
	v_fmamk_f16 v21, v17, 0xbb47, v20
	v_fmac_f16_e32 v20, 0x3b47, v17
	v_add_f16_e32 v17, v40, v25
	v_fmamk_f16 v25, v6, 0x3482, v14
	v_mul_f16_e32 v27, 0x3abb, v15
	v_mul_u32_u24_e32 v7, 0xb0, v7
	v_add_f16_e32 v39, v39, v42
	v_add_f16_e32 v38, v38, v43
	;; [unrolled: 1-line block ×4, first 2 shown]
	v_fmac_f16_e32 v14, 0xb482, v6
	v_add_f16_e32 v20, v25, v30
	v_fmamk_f16 v22, v6, 0xb853, v27
	v_mul_f16_e32 v25, 0xb93d, v15
	v_or_b32_e32 v4, v7, v4
	v_add_f16_e32 v24, v24, v39
	v_add_f16_e32 v14, v14, v18
	;; [unrolled: 1-line block ×3, first 2 shown]
	v_fmamk_f16 v22, v6, 0x3a0c, v25
	v_fmac_f16_e32 v25, 0xba0c, v6
	v_mul_f16_e32 v7, 0x36a6, v15
	v_mul_f16_e32 v15, 0xb08e, v15
	v_lshlrev_b32_e32 v4, 1, v4
	v_add_f16_e32 v22, v22, v23
	v_add_f16_e32 v23, v25, v24
	v_fmamk_f16 v24, v6, 0xbb47, v7
	v_add_f16_e32 v34, v34, v37
	v_fmac_f16_e32 v27, 0x3853, v6
	v_fmac_f16_e32 v7, 0x3b47, v6
	v_fmamk_f16 v25, v6, 0x3beb, v15
	v_fmac_f16_e32 v15, 0xbbeb, v6
	v_add3_u32 v1, 0, v4, v1
	v_add_f16_e32 v4, v24, v16
	v_add_f16_e32 v27, v27, v34
	;; [unrolled: 1-line block ×5, first 2 shown]
	ds_store_b16 v1, v26
	ds_store_b16 v1, v20 offset:32
	ds_store_b16 v1, v18 offset:64
	;; [unrolled: 1-line block ×10, first 2 shown]
.LBB0_19:
	s_wait_alu 0xfffe
	s_or_b32 exec_lo, exec_lo, s1
	v_mov_b32_e32 v1, 0
	global_wb scope:SCOPE_SE
	s_wait_dscnt 0x0
	s_barrier_signal -1
	s_barrier_wait -1
	global_inv scope:SCOPE_SE
	v_lshlrev_b64_e32 v[4:5], 2, v[0:1]
	v_lshl_add_u32 v20, v12, 1, v13
	s_delay_alu instid0(VALU_DEP_2) | instskip(SKIP_1) | instid1(VALU_DEP_3)
	v_add_co_u32 v6, s0, s4, v4
	s_wait_alu 0xf1ff
	v_add_co_ci_u32_e64 v7, s0, s5, v5, s0
	s_clause 0x1
	global_load_b32 v0, v[6:7], off offset:696
	global_load_b32 v14, v[6:7], off offset:1048
	ds_load_u16 v15, v11 offset:704
	ds_load_u16 v16, v11 offset:880
	;; [unrolled: 1-line block ×4, first 2 shown]
	ds_load_u16 v12, v10
	ds_load_u16 v21, v11 offset:176
	ds_load_u16 v22, v11 offset:352
	;; [unrolled: 1-line block ×3, first 2 shown]
	global_wb scope:SCOPE_SE
	s_wait_loadcnt_dscnt 0x0
	s_barrier_signal -1
	s_barrier_wait -1
	global_inv scope:SCOPE_SE
	v_lshrrev_b32_e32 v13, 16, v0
	v_lshrrev_b32_e32 v24, 16, v14
	s_delay_alu instid0(VALU_DEP_2) | instskip(SKIP_1) | instid1(VALU_DEP_3)
	v_mul_f16_e32 v25, v15, v13
	v_mul_f16_e32 v26, v36, v13
	;; [unrolled: 1-line block ×8, first 2 shown]
	v_fmac_f16_e32 v25, v36, v0
	v_fma_f16 v15, v15, v0, -v26
	v_fmac_f16_e32 v27, v35, v14
	v_fma_f16 v16, v16, v14, -v30
	v_fmac_f16_e32 v34, v32, v0
	v_fmac_f16_e32 v37, v33, v14
	v_fma_f16 v0, v17, v0, -v13
	v_fma_f16 v13, v18, v14, -v24
	v_sub_f16_e32 v14, v19, v25
	v_sub_f16_e32 v24, v12, v15
	;; [unrolled: 1-line block ×7, first 2 shown]
	v_fma_f16 v13, v19, 2.0, -v14
	v_fma_f16 v18, v28, 2.0, -v15
	;; [unrolled: 1-line block ×5, first 2 shown]
	ds_store_b16 v11, v13
	ds_store_b16 v11, v18 offset:176
	ds_store_b16 v11, v14 offset:352
	;; [unrolled: 1-line block ×7, first 2 shown]
	global_wb scope:SCOPE_SE
	s_wait_dscnt 0x0
	s_barrier_signal -1
	s_barrier_wait -1
	global_inv scope:SCOPE_SE
	ds_load_u16 v12, v10
	ds_load_u16 v13, v11 offset:176
	ds_load_u16 v14, v11 offset:352
	;; [unrolled: 1-line block ×7, first 2 shown]
	v_sub_f16_e32 v0, v22, v0
	v_fma_f16 v21, v21, 2.0, -v25
	v_fma_f16 v23, v23, 2.0, -v26
	global_wb scope:SCOPE_SE
	s_wait_dscnt 0x0
	s_barrier_signal -1
	v_fma_f16 v22, v22, 2.0, -v0
	s_barrier_wait -1
	global_inv scope:SCOPE_SE
	ds_store_b16 v11, v27
	ds_store_b16 v11, v21 offset:176
	ds_store_b16 v11, v24 offset:352
	;; [unrolled: 1-line block ×7, first 2 shown]
	global_wb scope:SCOPE_SE
	s_wait_dscnt 0x0
	s_barrier_signal -1
	s_barrier_wait -1
	global_inv scope:SCOPE_SE
	s_and_saveexec_b32 s0, vcc_lo
	s_cbranch_execz .LBB0_21
; %bb.20:
	s_clause 0x3
	global_load_b32 v20, v[6:7], off offset:2456
	global_load_b32 v21, v[6:7], off offset:2104
	global_load_b32 v22, v[6:7], off offset:1752
	global_load_b32 v6, v[6:7], off offset:1400
	v_mul_hi_u32 v0, 0xba2e8ba3, v9
	v_mul_hi_u32 v7, 0xba2e8ba3, v8
	ds_load_u16 v8, v11 offset:1232
	ds_load_u16 v9, v11 offset:1056
	;; [unrolled: 1-line block ×7, first 2 shown]
	ds_load_u16 v10, v10
	v_add_co_u32 v27, vcc_lo, s8, v2
	s_wait_alu 0xfffd
	v_add_co_ci_u32_e32 v28, vcc_lo, s9, v3, vcc_lo
	v_lshrrev_b32_e32 v0, 8, v0
	v_lshrrev_b32_e32 v7, 8, v7
	v_add_co_u32 v4, vcc_lo, v27, v4
	s_wait_alu 0xfffd
	v_add_co_ci_u32_e32 v5, vcc_lo, v28, v5, vcc_lo
	v_mul_u32_u24_e32 v0, 0x160, v0
	s_delay_alu instid0(VALU_DEP_1) | instskip(SKIP_1) | instid1(VALU_DEP_1)
	v_lshlrev_b64_e32 v[2:3], 2, v[0:1]
	v_mul_u32_u24_e32 v0, 0x160, v7
	v_lshlrev_b64_e32 v[0:1], 2, v[0:1]
	s_delay_alu instid0(VALU_DEP_3) | instskip(SKIP_1) | instid1(VALU_DEP_4)
	v_add_co_u32 v2, vcc_lo, v4, v2
	s_wait_alu 0xfffd
	v_add_co_ci_u32_e32 v3, vcc_lo, v5, v3, vcc_lo
	s_delay_alu instid0(VALU_DEP_3)
	v_add_co_u32 v0, vcc_lo, v4, v0
	s_wait_alu 0xfffd
	v_add_co_ci_u32_e32 v1, vcc_lo, v5, v1, vcc_lo
	s_wait_loadcnt 0x3
	v_lshrrev_b32_e32 v7, 16, v20
	s_wait_loadcnt 0x2
	v_lshrrev_b32_e32 v28, 16, v21
	;; [unrolled: 2-line block ×4, first 2 shown]
	v_mul_f16_e32 v27, v19, v20
	v_mul_f16_e32 v33, v17, v6
	;; [unrolled: 1-line block ×7, first 2 shown]
	s_wait_dscnt 0x7
	v_fmac_f16_e32 v27, v8, v7
	v_mul_f16_e32 v7, v19, v7
	s_wait_dscnt 0x4
	v_fmac_f16_e32 v33, v24, v32
	v_fma_f16 v6, v24, v6, -v17
	v_fmac_f16_e32 v31, v23, v30
	v_fma_f16 v16, v23, v22, -v16
	;; [unrolled: 2-line block ×3, first 2 shown]
	v_fma_f16 v7, v8, v20, -v7
	v_sub_f16_e32 v20, v12, v33
	s_wait_dscnt 0x0
	v_sub_f16_e32 v6, v10, v6
	v_sub_f16_e32 v18, v13, v31
	;; [unrolled: 1-line block ×7, first 2 shown]
	v_fma_f16 v12, v12, 2.0, -v20
	v_fma_f16 v10, v10, 2.0, -v6
	;; [unrolled: 1-line block ×8, first 2 shown]
	v_pack_b32_f16 v8, v8, v9
	v_pack_b32_f16 v9, v12, v10
	;; [unrolled: 1-line block ×8, first 2 shown]
	s_clause 0x7
	global_store_b32 v[4:5], v9, off
	global_store_b32 v[4:5], v10, off offset:352
	global_store_b32 v[4:5], v6, off offset:1408
	;; [unrolled: 1-line block ×7, first 2 shown]
.LBB0_21:
	s_nop 0
	s_sendmsg sendmsg(MSG_DEALLOC_VGPRS)
	s_endpgm
	.section	.rodata,"a",@progbits
	.p2align	6, 0x0
	.amdhsa_kernel fft_rtc_back_len704_factors_2_2_2_2_11_2_2_wgs_176_tpt_88_halfLds_half_ip_CI_unitstride_sbrr_dirReg
		.amdhsa_group_segment_fixed_size 0
		.amdhsa_private_segment_fixed_size 0
		.amdhsa_kernarg_size 88
		.amdhsa_user_sgpr_count 2
		.amdhsa_user_sgpr_dispatch_ptr 0
		.amdhsa_user_sgpr_queue_ptr 0
		.amdhsa_user_sgpr_kernarg_segment_ptr 1
		.amdhsa_user_sgpr_dispatch_id 0
		.amdhsa_user_sgpr_private_segment_size 0
		.amdhsa_wavefront_size32 1
		.amdhsa_uses_dynamic_stack 0
		.amdhsa_enable_private_segment 0
		.amdhsa_system_sgpr_workgroup_id_x 1
		.amdhsa_system_sgpr_workgroup_id_y 0
		.amdhsa_system_sgpr_workgroup_id_z 0
		.amdhsa_system_sgpr_workgroup_info 0
		.amdhsa_system_vgpr_workitem_id 0
		.amdhsa_next_free_vgpr 64
		.amdhsa_next_free_sgpr 32
		.amdhsa_reserve_vcc 1
		.amdhsa_float_round_mode_32 0
		.amdhsa_float_round_mode_16_64 0
		.amdhsa_float_denorm_mode_32 3
		.amdhsa_float_denorm_mode_16_64 3
		.amdhsa_fp16_overflow 0
		.amdhsa_workgroup_processor_mode 1
		.amdhsa_memory_ordered 1
		.amdhsa_forward_progress 0
		.amdhsa_round_robin_scheduling 0
		.amdhsa_exception_fp_ieee_invalid_op 0
		.amdhsa_exception_fp_denorm_src 0
		.amdhsa_exception_fp_ieee_div_zero 0
		.amdhsa_exception_fp_ieee_overflow 0
		.amdhsa_exception_fp_ieee_underflow 0
		.amdhsa_exception_fp_ieee_inexact 0
		.amdhsa_exception_int_div_zero 0
	.end_amdhsa_kernel
	.text
.Lfunc_end0:
	.size	fft_rtc_back_len704_factors_2_2_2_2_11_2_2_wgs_176_tpt_88_halfLds_half_ip_CI_unitstride_sbrr_dirReg, .Lfunc_end0-fft_rtc_back_len704_factors_2_2_2_2_11_2_2_wgs_176_tpt_88_halfLds_half_ip_CI_unitstride_sbrr_dirReg
                                        ; -- End function
	.section	.AMDGPU.csdata,"",@progbits
; Kernel info:
; codeLenInByte = 8224
; NumSgprs: 34
; NumVgprs: 64
; ScratchSize: 0
; MemoryBound: 0
; FloatMode: 240
; IeeeMode: 1
; LDSByteSize: 0 bytes/workgroup (compile time only)
; SGPRBlocks: 4
; VGPRBlocks: 7
; NumSGPRsForWavesPerEU: 34
; NumVGPRsForWavesPerEU: 64
; Occupancy: 15
; WaveLimiterHint : 1
; COMPUTE_PGM_RSRC2:SCRATCH_EN: 0
; COMPUTE_PGM_RSRC2:USER_SGPR: 2
; COMPUTE_PGM_RSRC2:TRAP_HANDLER: 0
; COMPUTE_PGM_RSRC2:TGID_X_EN: 1
; COMPUTE_PGM_RSRC2:TGID_Y_EN: 0
; COMPUTE_PGM_RSRC2:TGID_Z_EN: 0
; COMPUTE_PGM_RSRC2:TIDIG_COMP_CNT: 0
	.text
	.p2alignl 7, 3214868480
	.fill 96, 4, 3214868480
	.type	__hip_cuid_4316d5537eeb373,@object ; @__hip_cuid_4316d5537eeb373
	.section	.bss,"aw",@nobits
	.globl	__hip_cuid_4316d5537eeb373
__hip_cuid_4316d5537eeb373:
	.byte	0                               ; 0x0
	.size	__hip_cuid_4316d5537eeb373, 1

	.ident	"AMD clang version 19.0.0git (https://github.com/RadeonOpenCompute/llvm-project roc-6.4.0 25133 c7fe45cf4b819c5991fe208aaa96edf142730f1d)"
	.section	".note.GNU-stack","",@progbits
	.addrsig
	.addrsig_sym __hip_cuid_4316d5537eeb373
	.amdgpu_metadata
---
amdhsa.kernels:
  - .args:
      - .actual_access:  read_only
        .address_space:  global
        .offset:         0
        .size:           8
        .value_kind:     global_buffer
      - .offset:         8
        .size:           8
        .value_kind:     by_value
      - .actual_access:  read_only
        .address_space:  global
        .offset:         16
        .size:           8
        .value_kind:     global_buffer
      - .actual_access:  read_only
        .address_space:  global
        .offset:         24
        .size:           8
        .value_kind:     global_buffer
      - .offset:         32
        .size:           8
        .value_kind:     by_value
      - .actual_access:  read_only
        .address_space:  global
        .offset:         40
        .size:           8
        .value_kind:     global_buffer
      - .actual_access:  read_only
        .address_space:  global
        .offset:         48
        .size:           8
        .value_kind:     global_buffer
      - .offset:         56
        .size:           4
        .value_kind:     by_value
      - .actual_access:  read_only
        .address_space:  global
        .offset:         64
        .size:           8
        .value_kind:     global_buffer
      - .actual_access:  read_only
        .address_space:  global
        .offset:         72
        .size:           8
        .value_kind:     global_buffer
      - .address_space:  global
        .offset:         80
        .size:           8
        .value_kind:     global_buffer
    .group_segment_fixed_size: 0
    .kernarg_segment_align: 8
    .kernarg_segment_size: 88
    .language:       OpenCL C
    .language_version:
      - 2
      - 0
    .max_flat_workgroup_size: 176
    .name:           fft_rtc_back_len704_factors_2_2_2_2_11_2_2_wgs_176_tpt_88_halfLds_half_ip_CI_unitstride_sbrr_dirReg
    .private_segment_fixed_size: 0
    .sgpr_count:     34
    .sgpr_spill_count: 0
    .symbol:         fft_rtc_back_len704_factors_2_2_2_2_11_2_2_wgs_176_tpt_88_halfLds_half_ip_CI_unitstride_sbrr_dirReg.kd
    .uniform_work_group_size: 1
    .uses_dynamic_stack: false
    .vgpr_count:     64
    .vgpr_spill_count: 0
    .wavefront_size: 32
    .workgroup_processor_mode: 1
amdhsa.target:   amdgcn-amd-amdhsa--gfx1201
amdhsa.version:
  - 1
  - 2
...

	.end_amdgpu_metadata
